;; amdgpu-corpus repo=ROCm/rocFFT kind=compiled arch=gfx906 opt=O3
	.text
	.amdgcn_target "amdgcn-amd-amdhsa--gfx906"
	.amdhsa_code_object_version 6
	.protected	fft_rtc_back_len1690_factors_13_10_13_wgs_169_tpt_169_half_op_CI_CI_unitstride_sbrr_C2R_dirReg ; -- Begin function fft_rtc_back_len1690_factors_13_10_13_wgs_169_tpt_169_half_op_CI_CI_unitstride_sbrr_C2R_dirReg
	.globl	fft_rtc_back_len1690_factors_13_10_13_wgs_169_tpt_169_half_op_CI_CI_unitstride_sbrr_C2R_dirReg
	.p2align	8
	.type	fft_rtc_back_len1690_factors_13_10_13_wgs_169_tpt_169_half_op_CI_CI_unitstride_sbrr_C2R_dirReg,@function
fft_rtc_back_len1690_factors_13_10_13_wgs_169_tpt_169_half_op_CI_CI_unitstride_sbrr_C2R_dirReg: ; @fft_rtc_back_len1690_factors_13_10_13_wgs_169_tpt_169_half_op_CI_CI_unitstride_sbrr_C2R_dirReg
; %bb.0:
	s_load_dwordx4 s[8:11], s[4:5], 0x58
	s_load_dwordx4 s[12:15], s[4:5], 0x0
	;; [unrolled: 1-line block ×3, first 2 shown]
	v_mul_u32_u24_e32 v1, 0x184, v0
	v_mov_b32_e32 v8, 0
	v_mov_b32_e32 v6, 0
	s_waitcnt lgkmcnt(0)
	v_cmp_lt_u64_e64 s[0:1], s[14:15], 2
	v_add_u32_sdwa v10, s6, v1 dst_sel:DWORD dst_unused:UNUSED_PAD src0_sel:DWORD src1_sel:WORD_1
	v_mov_b32_e32 v11, v8
	s_and_b64 vcc, exec, s[0:1]
	v_mov_b32_e32 v7, 0
	s_cbranch_vccnz .LBB0_8
; %bb.1:
	s_load_dwordx2 s[0:1], s[4:5], 0x10
	s_add_u32 s2, s18, 8
	s_addc_u32 s3, s19, 0
	s_add_u32 s6, s16, 8
	s_addc_u32 s7, s17, 0
	v_mov_b32_e32 v6, 0
	s_waitcnt lgkmcnt(0)
	s_add_u32 s20, s0, 8
	v_mov_b32_e32 v7, 0
	v_mov_b32_e32 v1, v6
	s_addc_u32 s21, s1, 0
	s_mov_b64 s[22:23], 1
	v_mov_b32_e32 v2, v7
.LBB0_2:                                ; =>This Inner Loop Header: Depth=1
	s_load_dwordx2 s[24:25], s[20:21], 0x0
                                        ; implicit-def: $vgpr3_vgpr4
	s_waitcnt lgkmcnt(0)
	v_or_b32_e32 v9, s25, v11
	v_cmp_ne_u64_e32 vcc, 0, v[8:9]
	s_and_saveexec_b64 s[0:1], vcc
	s_xor_b64 s[26:27], exec, s[0:1]
	s_cbranch_execz .LBB0_4
; %bb.3:                                ;   in Loop: Header=BB0_2 Depth=1
	v_cvt_f32_u32_e32 v3, s24
	v_cvt_f32_u32_e32 v4, s25
	s_sub_u32 s0, 0, s24
	s_subb_u32 s1, 0, s25
	v_mac_f32_e32 v3, 0x4f800000, v4
	v_rcp_f32_e32 v3, v3
	v_mul_f32_e32 v3, 0x5f7ffffc, v3
	v_mul_f32_e32 v4, 0x2f800000, v3
	v_trunc_f32_e32 v4, v4
	v_mac_f32_e32 v3, 0xcf800000, v4
	v_cvt_u32_f32_e32 v4, v4
	v_cvt_u32_f32_e32 v3, v3
	v_mul_lo_u32 v5, s0, v4
	v_mul_hi_u32 v9, s0, v3
	v_mul_lo_u32 v13, s1, v3
	v_mul_lo_u32 v12, s0, v3
	v_add_u32_e32 v5, v9, v5
	v_add_u32_e32 v5, v5, v13
	v_mul_hi_u32 v9, v3, v12
	v_mul_lo_u32 v13, v3, v5
	v_mul_hi_u32 v15, v3, v5
	v_mul_hi_u32 v14, v4, v12
	v_mul_lo_u32 v12, v4, v12
	v_mul_hi_u32 v16, v4, v5
	v_add_co_u32_e32 v9, vcc, v9, v13
	v_addc_co_u32_e32 v13, vcc, 0, v15, vcc
	v_mul_lo_u32 v5, v4, v5
	v_add_co_u32_e32 v9, vcc, v9, v12
	v_addc_co_u32_e32 v9, vcc, v13, v14, vcc
	v_addc_co_u32_e32 v12, vcc, 0, v16, vcc
	v_add_co_u32_e32 v5, vcc, v9, v5
	v_addc_co_u32_e32 v9, vcc, 0, v12, vcc
	v_add_co_u32_e32 v3, vcc, v3, v5
	v_addc_co_u32_e32 v4, vcc, v4, v9, vcc
	v_mul_lo_u32 v5, s0, v4
	v_mul_hi_u32 v9, s0, v3
	v_mul_lo_u32 v12, s1, v3
	v_mul_lo_u32 v13, s0, v3
	v_add_u32_e32 v5, v9, v5
	v_add_u32_e32 v5, v5, v12
	v_mul_lo_u32 v14, v3, v5
	v_mul_hi_u32 v15, v3, v13
	v_mul_hi_u32 v16, v3, v5
	v_mul_hi_u32 v12, v4, v13
	v_mul_lo_u32 v13, v4, v13
	v_mul_hi_u32 v9, v4, v5
	v_add_co_u32_e32 v14, vcc, v15, v14
	v_addc_co_u32_e32 v15, vcc, 0, v16, vcc
	v_mul_lo_u32 v5, v4, v5
	v_add_co_u32_e32 v13, vcc, v14, v13
	v_addc_co_u32_e32 v12, vcc, v15, v12, vcc
	v_addc_co_u32_e32 v9, vcc, 0, v9, vcc
	v_add_co_u32_e32 v5, vcc, v12, v5
	v_addc_co_u32_e32 v9, vcc, 0, v9, vcc
	v_add_co_u32_e32 v5, vcc, v3, v5
	v_addc_co_u32_e32 v9, vcc, v4, v9, vcc
	v_mad_u64_u32 v[3:4], s[0:1], v10, v9, 0
	v_mul_hi_u32 v12, v10, v5
	v_add_co_u32_e32 v14, vcc, v12, v3
	v_addc_co_u32_e32 v15, vcc, 0, v4, vcc
	v_mad_u64_u32 v[3:4], s[0:1], v11, v5, 0
	v_mad_u64_u32 v[12:13], s[0:1], v11, v9, 0
	v_add_co_u32_e32 v3, vcc, v14, v3
	v_addc_co_u32_e32 v3, vcc, v15, v4, vcc
	v_addc_co_u32_e32 v4, vcc, 0, v13, vcc
	v_add_co_u32_e32 v5, vcc, v3, v12
	v_addc_co_u32_e32 v9, vcc, 0, v4, vcc
	v_mul_lo_u32 v12, s25, v5
	v_mul_lo_u32 v13, s24, v9
	v_mad_u64_u32 v[3:4], s[0:1], s24, v5, 0
	v_add3_u32 v4, v4, v13, v12
	v_sub_u32_e32 v12, v11, v4
	v_mov_b32_e32 v13, s25
	v_sub_co_u32_e32 v3, vcc, v10, v3
	v_subb_co_u32_e64 v12, s[0:1], v12, v13, vcc
	v_subrev_co_u32_e64 v13, s[0:1], s24, v3
	v_subbrev_co_u32_e64 v12, s[0:1], 0, v12, s[0:1]
	v_cmp_le_u32_e64 s[0:1], s25, v12
	v_cndmask_b32_e64 v14, 0, -1, s[0:1]
	v_cmp_le_u32_e64 s[0:1], s24, v13
	v_cndmask_b32_e64 v13, 0, -1, s[0:1]
	v_cmp_eq_u32_e64 s[0:1], s25, v12
	v_cndmask_b32_e64 v12, v14, v13, s[0:1]
	v_add_co_u32_e64 v13, s[0:1], 2, v5
	v_addc_co_u32_e64 v14, s[0:1], 0, v9, s[0:1]
	v_add_co_u32_e64 v15, s[0:1], 1, v5
	v_addc_co_u32_e64 v16, s[0:1], 0, v9, s[0:1]
	v_subb_co_u32_e32 v4, vcc, v11, v4, vcc
	v_cmp_ne_u32_e64 s[0:1], 0, v12
	v_cmp_le_u32_e32 vcc, s25, v4
	v_cndmask_b32_e64 v12, v16, v14, s[0:1]
	v_cndmask_b32_e64 v14, 0, -1, vcc
	v_cmp_le_u32_e32 vcc, s24, v3
	v_cndmask_b32_e64 v3, 0, -1, vcc
	v_cmp_eq_u32_e32 vcc, s25, v4
	v_cndmask_b32_e32 v3, v14, v3, vcc
	v_cmp_ne_u32_e32 vcc, 0, v3
	v_cndmask_b32_e64 v3, v15, v13, s[0:1]
	v_cndmask_b32_e32 v4, v9, v12, vcc
	v_cndmask_b32_e32 v3, v5, v3, vcc
.LBB0_4:                                ;   in Loop: Header=BB0_2 Depth=1
	s_andn2_saveexec_b64 s[0:1], s[26:27]
	s_cbranch_execz .LBB0_6
; %bb.5:                                ;   in Loop: Header=BB0_2 Depth=1
	v_cvt_f32_u32_e32 v3, s24
	s_sub_i32 s26, 0, s24
	v_rcp_iflag_f32_e32 v3, v3
	v_mul_f32_e32 v3, 0x4f7ffffe, v3
	v_cvt_u32_f32_e32 v3, v3
	v_mul_lo_u32 v4, s26, v3
	v_mul_hi_u32 v4, v3, v4
	v_add_u32_e32 v3, v3, v4
	v_mul_hi_u32 v3, v10, v3
	v_mul_lo_u32 v4, v3, s24
	v_add_u32_e32 v5, 1, v3
	v_sub_u32_e32 v4, v10, v4
	v_subrev_u32_e32 v9, s24, v4
	v_cmp_le_u32_e32 vcc, s24, v4
	v_cndmask_b32_e32 v4, v4, v9, vcc
	v_cndmask_b32_e32 v3, v3, v5, vcc
	v_add_u32_e32 v5, 1, v3
	v_cmp_le_u32_e32 vcc, s24, v4
	v_cndmask_b32_e32 v3, v3, v5, vcc
	v_mov_b32_e32 v4, v8
.LBB0_6:                                ;   in Loop: Header=BB0_2 Depth=1
	s_or_b64 exec, exec, s[0:1]
	v_mul_lo_u32 v5, v4, s24
	v_mul_lo_u32 v9, v3, s25
	v_mad_u64_u32 v[12:13], s[0:1], v3, s24, 0
	s_load_dwordx2 s[0:1], s[6:7], 0x0
	s_load_dwordx2 s[24:25], s[2:3], 0x0
	v_add3_u32 v5, v13, v9, v5
	v_sub_co_u32_e32 v9, vcc, v10, v12
	v_subb_co_u32_e32 v5, vcc, v11, v5, vcc
	s_waitcnt lgkmcnt(0)
	v_mul_lo_u32 v10, s0, v5
	v_mul_lo_u32 v11, s1, v9
	v_mad_u64_u32 v[6:7], s[0:1], s0, v9, v[6:7]
	s_add_u32 s22, s22, 1
	s_addc_u32 s23, s23, 0
	s_add_u32 s2, s2, 8
	v_mul_lo_u32 v5, s24, v5
	v_mul_lo_u32 v12, s25, v9
	v_mad_u64_u32 v[1:2], s[0:1], s24, v9, v[1:2]
	v_add3_u32 v7, v11, v7, v10
	s_addc_u32 s3, s3, 0
	v_mov_b32_e32 v9, s14
	s_add_u32 s6, s6, 8
	v_mov_b32_e32 v10, s15
	s_addc_u32 s7, s7, 0
	v_cmp_ge_u64_e32 vcc, s[22:23], v[9:10]
	s_add_u32 s20, s20, 8
	v_add3_u32 v2, v12, v2, v5
	s_addc_u32 s21, s21, 0
	s_cbranch_vccnz .LBB0_9
; %bb.7:                                ;   in Loop: Header=BB0_2 Depth=1
	v_mov_b32_e32 v11, v4
	v_mov_b32_e32 v10, v3
	s_branch .LBB0_2
.LBB0_8:
	v_mov_b32_e32 v1, v6
	v_mov_b32_e32 v3, v10
	;; [unrolled: 1-line block ×4, first 2 shown]
.LBB0_9:
	s_load_dwordx2 s[4:5], s[4:5], 0x28
	s_lshl_b64 s[6:7], s[14:15], 3
	s_add_u32 s2, s18, s6
	s_addc_u32 s3, s19, s7
                                        ; implicit-def: $vgpr5
	s_waitcnt lgkmcnt(0)
	v_cmp_gt_u64_e64 s[0:1], s[4:5], v[3:4]
	v_cmp_le_u64_e32 vcc, s[4:5], v[3:4]
	s_and_saveexec_b64 s[4:5], vcc
	s_xor_b64 s[4:5], exec, s[4:5]
; %bb.10:
	s_mov_b32 s14, 0x183c978
	v_mul_hi_u32 v5, v0, s14
                                        ; implicit-def: $vgpr6_vgpr7
	v_mul_u32_u24_e32 v5, 0xa9, v5
	v_sub_u32_e32 v5, v0, v5
                                        ; implicit-def: $vgpr0
; %bb.11:
	s_or_saveexec_b64 s[4:5], s[4:5]
	s_load_dwordx2 s[2:3], s[2:3], 0x0
	s_xor_b64 exec, exec, s[4:5]
	s_cbranch_execz .LBB0_15
; %bb.12:
	s_add_u32 s6, s16, s6
	s_addc_u32 s7, s17, s7
	s_load_dwordx2 s[6:7], s[6:7], 0x0
	s_mov_b32 s14, 0x183c978
	v_mul_hi_u32 v5, v0, s14
	v_lshlrev_b64 v[6:7], 2, v[6:7]
	s_waitcnt lgkmcnt(0)
	v_mul_lo_u32 v10, s7, v3
	v_mul_lo_u32 v11, s6, v4
	v_mad_u64_u32 v[8:9], s[6:7], s6, v3, 0
	v_mul_u32_u24_e32 v5, 0xa9, v5
	v_sub_u32_e32 v5, v0, v5
	v_add3_u32 v9, v9, v11, v10
	v_lshlrev_b64 v[8:9], 2, v[8:9]
	v_mov_b32_e32 v0, s9
	v_add_co_u32_e32 v8, vcc, s8, v8
	v_addc_co_u32_e32 v0, vcc, v0, v9, vcc
	v_add_co_u32_e32 v6, vcc, v8, v6
	v_addc_co_u32_e32 v0, vcc, v0, v7, vcc
	v_lshlrev_b32_e32 v11, 2, v5
	v_add_co_u32_e32 v7, vcc, v6, v11
	v_addc_co_u32_e32 v8, vcc, 0, v0, vcc
	v_add_co_u32_e32 v9, vcc, 0x1000, v7
	v_addc_co_u32_e32 v10, vcc, 0, v8, vcc
	global_load_dword v12, v[7:8], off
	global_load_dword v13, v[7:8], off offset:676
	global_load_dword v14, v[7:8], off offset:1352
	;; [unrolled: 1-line block ×9, first 2 shown]
	s_movk_i32 s6, 0xa8
	v_add_u32_e32 v7, 0, v11
	v_cmp_eq_u32_e32 vcc, s6, v5
	v_add_u32_e32 v8, 0x400, v7
	v_add_u32_e32 v9, 0xa00, v7
	;; [unrolled: 1-line block ×4, first 2 shown]
	s_waitcnt vmcnt(8)
	ds_write2_b32 v7, v12, v13 offset1:169
	s_waitcnt vmcnt(6)
	ds_write2_b32 v8, v14, v15 offset0:82 offset1:251
	s_waitcnt vmcnt(4)
	ds_write2_b32 v9, v16, v17 offset0:36 offset1:205
	;; [unrolled: 2-line block ×4, first 2 shown]
	s_and_saveexec_b64 s[6:7], vcc
	s_cbranch_execz .LBB0_14
; %bb.13:
	v_add_co_u32_e32 v5, vcc, 0x1000, v6
	v_addc_co_u32_e32 v6, vcc, 0, v0, vcc
	global_load_dword v0, v[5:6], off offset:2664
	v_mov_b32_e32 v5, 0
	s_waitcnt vmcnt(0)
	ds_write_b32 v5, v0 offset:6760
	v_mov_b32_e32 v5, 0xa8
.LBB0_14:
	s_or_b64 exec, exec, s[6:7]
.LBB0_15:
	s_or_b64 exec, exec, s[4:5]
	v_lshlrev_b32_e32 v6, 2, v5
	v_add_u32_e32 v0, 0, v6
	s_waitcnt lgkmcnt(0)
	s_barrier
	v_sub_u32_e32 v8, 0, v6
	ds_read_u16 v11, v0
	ds_read_u16 v12, v8 offset:6760
	s_add_u32 s6, s12, 0x1a34
	s_addc_u32 s7, s13, 0
	v_cmp_ne_u32_e32 vcc, 0, v5
                                        ; implicit-def: $vgpr6_vgpr7
	s_waitcnt lgkmcnt(0)
	v_add_f16_e32 v9, v12, v11
	v_sub_f16_e32 v10, v11, v12
	s_and_saveexec_b64 s[4:5], vcc
	s_xor_b64 s[4:5], exec, s[4:5]
	s_cbranch_execz .LBB0_17
; %bb.16:
	v_mov_b32_e32 v6, 0
	v_lshlrev_b64 v[9:10], 2, v[5:6]
	v_mov_b32_e32 v7, s7
	v_add_co_u32_e32 v9, vcc, s6, v9
	v_addc_co_u32_e32 v10, vcc, v7, v10, vcc
	global_load_dword v7, v[9:10], off
	ds_read_u16 v9, v8 offset:6762
	ds_read_u16 v10, v0 offset:2
	v_add_f16_e32 v13, v12, v11
	v_sub_f16_e32 v11, v11, v12
	s_waitcnt lgkmcnt(0)
	v_add_f16_e32 v12, v9, v10
	v_sub_f16_e32 v9, v10, v9
	s_waitcnt vmcnt(0)
	v_lshrrev_b32_e32 v10, 16, v7
	v_fma_f16 v14, v11, v10, v13
	v_fma_f16 v15, v12, v10, v9
	v_fma_f16 v13, -v11, v10, v13
	v_fma_f16 v16, v12, v10, -v9
	v_fma_f16 v9, -v7, v12, v14
	v_fma_f16 v10, v11, v7, v15
	v_fma_f16 v12, v7, v12, v13
	;; [unrolled: 1-line block ×3, first 2 shown]
	v_pack_b32_f16 v7, v12, v7
	ds_write_b32 v8, v7 offset:6760
	v_mov_b32_e32 v7, v6
	v_mov_b32_e32 v6, v5
.LBB0_17:
	s_andn2_saveexec_b64 s[4:5], s[4:5]
	s_cbranch_execz .LBB0_19
; %bb.18:
	v_mov_b32_e32 v11, 0
	ds_read_b32 v6, v11 offset:3380
	s_mov_b32 s8, 0xc0004000
	s_waitcnt lgkmcnt(0)
	v_pk_mul_f16 v12, v6, s8
	v_mov_b32_e32 v6, 0
	v_mov_b32_e32 v7, 0
	ds_write_b32 v11, v12 offset:3380
.LBB0_19:
	s_or_b64 exec, exec, s[4:5]
	v_lshlrev_b64 v[6:7], 2, v[6:7]
	v_mov_b32_e32 v11, s7
	v_add_co_u32_e32 v6, vcc, s6, v6
	v_addc_co_u32_e32 v7, vcc, v11, v7, vcc
	global_load_dword v11, v[6:7], off offset:676
	global_load_dword v12, v[6:7], off offset:1352
	;; [unrolled: 1-line block ×4, first 2 shown]
	s_mov_b32 s6, 0x5040100
	v_perm_b32 v6, v10, v9, s6
	ds_write_b32 v0, v6
	ds_read_b32 v6, v0 offset:676
	ds_read_b32 v7, v8 offset:6084
	v_add_u32_e32 v24, 0x400, v0
	v_add_u32_e32 v25, 0x1400, v0
	s_mov_b32 s16, 0xba95
	s_mov_b32 s17, 0xbbf1
	s_waitcnt lgkmcnt(0)
	v_add_f16_e32 v9, v6, v7
	v_add_f16_sdwa v10, v7, v6 dst_sel:DWORD dst_unused:UNUSED_PAD src0_sel:WORD_1 src1_sel:WORD_1
	v_sub_f16_e32 v15, v6, v7
	v_sub_f16_sdwa v6, v6, v7 dst_sel:DWORD dst_unused:UNUSED_PAD src0_sel:WORD_1 src1_sel:WORD_1
	s_movk_i32 s7, 0x388b
	s_movk_i32 s8, 0x2fb7
	s_mov_b32 s9, 0xbb7b
	s_mov_b32 s15, 0xb3a8
	;; [unrolled: 1-line block ×4, first 2 shown]
	s_movk_i32 s26, 0x3b7b
	s_movk_i32 s24, 0x394e
	s_mov_b32 s21, 0xb9fd
	s_movk_i32 s19, 0x3770
	s_movk_i32 s22, 0x3b15
	s_movk_i32 s20, 0x3bf1
	s_mov_b32 s23, 0xb94e
	s_mov_b32 s27, 0xb770
	s_movk_i32 s4, 0x82
	v_cmp_gt_u32_e32 vcc, s4, v5
	s_waitcnt vmcnt(3)
	v_lshrrev_b32_e32 v7, 16, v11
	v_fma_f16 v16, v15, v7, v9
	v_fma_f16 v17, v10, v7, v6
	v_fma_f16 v9, -v15, v7, v9
	v_fma_f16 v6, v10, v7, -v6
	v_fma_f16 v7, -v11, v10, v16
	v_fma_f16 v16, v15, v11, v17
	v_fma_f16 v9, v11, v10, v9
	v_fma_f16 v6, v15, v11, v6
	v_pack_b32_f16 v7, v7, v16
	v_pack_b32_f16 v6, v9, v6
	ds_write_b32 v0, v7 offset:676
	ds_write_b32 v8, v6 offset:6084
	ds_read_b32 v6, v0 offset:1352
	ds_read_b32 v7, v8 offset:5408
	s_waitcnt vmcnt(2)
	v_lshrrev_b32_e32 v9, 16, v12
	s_waitcnt lgkmcnt(0)
	v_add_f16_e32 v10, v6, v7
	v_add_f16_sdwa v11, v7, v6 dst_sel:DWORD dst_unused:UNUSED_PAD src0_sel:WORD_1 src1_sel:WORD_1
	v_sub_f16_e32 v15, v6, v7
	v_sub_f16_sdwa v6, v6, v7 dst_sel:DWORD dst_unused:UNUSED_PAD src0_sel:WORD_1 src1_sel:WORD_1
	v_fma_f16 v7, v15, v9, v10
	v_fma_f16 v16, v11, v9, v6
	v_fma_f16 v10, -v15, v9, v10
	v_fma_f16 v6, v11, v9, -v6
	v_fma_f16 v7, -v12, v11, v7
	v_fma_f16 v9, v15, v12, v16
	v_fma_f16 v10, v12, v11, v10
	v_fma_f16 v6, v15, v12, v6
	v_pack_b32_f16 v7, v7, v9
	v_pack_b32_f16 v6, v10, v6
	ds_write_b32 v0, v7 offset:1352
	ds_write_b32 v8, v6 offset:5408
	ds_read_b32 v6, v0 offset:2028
	ds_read_b32 v7, v8 offset:4732
	s_waitcnt vmcnt(1)
	v_lshrrev_b32_e32 v9, 16, v13
	s_waitcnt lgkmcnt(0)
	v_add_f16_e32 v10, v6, v7
	v_add_f16_sdwa v11, v7, v6 dst_sel:DWORD dst_unused:UNUSED_PAD src0_sel:WORD_1 src1_sel:WORD_1
	v_sub_f16_e32 v12, v6, v7
	v_sub_f16_sdwa v6, v6, v7 dst_sel:DWORD dst_unused:UNUSED_PAD src0_sel:WORD_1 src1_sel:WORD_1
	;; [unrolled: 21-line block ×3, first 2 shown]
	v_fma_f16 v7, v12, v9, v10
	v_fma_f16 v13, v11, v9, v6
	v_fma_f16 v10, -v12, v9, v10
	v_fma_f16 v6, v11, v9, -v6
	v_fma_f16 v7, -v14, v11, v7
	v_fma_f16 v9, v12, v14, v13
	v_fma_f16 v10, v14, v11, v10
	v_fma_f16 v6, v12, v14, v6
	v_pack_b32_f16 v7, v7, v9
	v_pack_b32_f16 v6, v10, v6
	ds_write_b32 v0, v7 offset:2704
	ds_write_b32 v8, v6 offset:4056
	s_waitcnt lgkmcnt(0)
	s_barrier
	s_barrier
	ds_read_b32 v31, v0 offset:6240
	ds_read2_b32 v[8:9], v0 offset1:130
	ds_read2_b32 v[12:13], v24 offset0:4 offset1:134
	ds_read2_b32 v[10:11], v25 offset0:20 offset1:150
	s_waitcnt lgkmcnt(2)
	v_pk_add_f16 v26, v9, v31 neg_lo:[0,1] neg_hi:[0,1]
	v_pk_add_f16 v30, v31, v9
	s_waitcnt lgkmcnt(0)
	v_pk_add_f16 v27, v12, v11 neg_lo:[0,1] neg_hi:[0,1]
	v_mul_f16_sdwa v40, v26, s16 dst_sel:DWORD dst_unused:UNUSED_PAD src0_sel:WORD_1 src1_sel:DWORD
	v_mul_f16_sdwa v44, v26, s17 dst_sel:DWORD dst_unused:UNUSED_PAD src0_sel:WORD_1 src1_sel:DWORD
	v_pk_add_f16 v29, v11, v12
	v_pk_add_f16 v28, v13, v10 neg_lo:[0,1] neg_hi:[0,1]
	v_mul_f16_sdwa v39, v27, s9 dst_sel:DWORD dst_unused:UNUSED_PAD src0_sel:WORD_1 src1_sel:DWORD
	v_mul_f16_sdwa v43, v27, s15 dst_sel:DWORD dst_unused:UNUSED_PAD src0_sel:WORD_1 src1_sel:DWORD
	v_fma_f16 v6, v30, s7, -v40
	v_fma_f16 v14, v30, s8, -v44
	v_pk_add_f16 v32, v10, v13
	v_fma_f16 v7, v29, s14, -v39
	v_fma_f16 v15, v29, s18, -v43
	v_add_f16_e32 v6, v8, v6
	v_add_f16_e32 v14, v8, v14
	v_mul_f16_sdwa v41, v28, s15 dst_sel:DWORD dst_unused:UNUSED_PAD src0_sel:WORD_1 src1_sel:DWORD
	v_add_f16_e32 v6, v7, v6
	v_add_f16_e32 v7, v15, v14
	v_fma_f16 v14, v32, s18, -v41
	v_add_f16_e32 v6, v14, v6
	v_add_u32_e32 v14, 0x800, v0
	ds_read2_b32 v[16:17], v14 offset0:8 offset1:138
	v_add_u32_e32 v14, 0x1000, v0
	ds_read2_b32 v[14:15], v14 offset0:16 offset1:146
	v_mul_f16_sdwa v45, v28, s26 dst_sel:DWORD dst_unused:UNUSED_PAD src0_sel:WORD_1 src1_sel:DWORD
	v_fma_f16 v18, v32, s14, -v45
	v_add_f16_e32 v7, v18, v7
	v_mul_f16_sdwa v52, v30, s7 dst_sel:DWORD dst_unused:UNUSED_PAD src0_sel:WORD_1 src1_sel:DWORD
	s_waitcnt lgkmcnt(0)
	v_pk_add_f16 v33, v16, v15 neg_lo:[0,1] neg_hi:[0,1]
	v_pk_add_f16 v35, v15, v16
	v_mul_f16_sdwa v42, v33, s24 dst_sel:DWORD dst_unused:UNUSED_PAD src0_sel:WORD_1 src1_sel:DWORD
	v_fma_f16 v18, v35, s21, -v42
	v_mul_f16_sdwa v47, v33, s19 dst_sel:DWORD dst_unused:UNUSED_PAD src0_sel:WORD_1 src1_sel:DWORD
	v_pk_add_f16 v34, v17, v14 neg_lo:[0,1] neg_hi:[0,1]
	v_add_f16_e32 v6, v18, v6
	v_fma_f16 v18, v35, s22, -v47
	v_pk_add_f16 v37, v14, v17
	v_mul_f16_sdwa v46, v34, s20 dst_sel:DWORD dst_unused:UNUSED_PAD src0_sel:WORD_1 src1_sel:DWORD
	v_add_f16_e32 v7, v18, v7
	v_fma_f16 v18, v37, s8, -v46
	v_add_f16_e32 v6, v18, v6
	v_add_u32_e32 v18, 0xc00, v0
	ds_read2_b32 v[18:19], v18 offset0:12 offset1:142
	v_mul_f16_sdwa v49, v34, s16 dst_sel:DWORD dst_unused:UNUSED_PAD src0_sel:WORD_1 src1_sel:DWORD
	v_fma_f16 v20, v37, s7, -v49
	v_add_f16_e32 v20, v20, v7
	v_mul_f16_sdwa v53, v29, s14 dst_sel:DWORD dst_unused:UNUSED_PAD src0_sel:WORD_1 src1_sel:DWORD
	s_waitcnt lgkmcnt(0)
	v_pk_add_f16 v36, v18, v19 neg_lo:[0,1] neg_hi:[0,1]
	v_pk_add_f16 v38, v19, v18
	v_mul_f16_sdwa v48, v36, s19 dst_sel:DWORD dst_unused:UNUSED_PAD src0_sel:WORD_1 src1_sel:DWORD
	v_fma_f16 v7, v38, s22, -v48
	v_mul_f16_sdwa v50, v36, s23 dst_sel:DWORD dst_unused:UNUSED_PAD src0_sel:WORD_1 src1_sel:DWORD
	v_add_f16_e32 v7, v7, v6
	v_fma_f16 v6, v38, s21, -v50
	v_add_f16_e32 v6, v6, v20
	v_fma_f16 v20, v26, s16, v52
	v_add_f16_sdwa v20, v8, v20 dst_sel:DWORD dst_unused:UNUSED_PAD src0_sel:WORD_1 src1_sel:DWORD
	v_fma_f16 v21, v27, s9, v53
	v_mul_f16_sdwa v69, v30, s8 dst_sel:DWORD dst_unused:UNUSED_PAD src0_sel:WORD_1 src1_sel:DWORD
	v_add_f16_e32 v20, v21, v20
	v_fma_f16 v21, v26, s17, v69
	v_mul_f16_sdwa v70, v29, s18 dst_sel:DWORD dst_unused:UNUSED_PAD src0_sel:WORD_1 src1_sel:DWORD
	v_add_f16_sdwa v21, v8, v21 dst_sel:DWORD dst_unused:UNUSED_PAD src0_sel:WORD_1 src1_sel:DWORD
	v_fma_f16 v22, v27, s15, v70
	v_mul_f16_sdwa v59, v32, s18 dst_sel:DWORD dst_unused:UNUSED_PAD src0_sel:WORD_1 src1_sel:DWORD
	v_add_f16_e32 v21, v22, v21
	v_fma_f16 v22, v28, s15, v59
	v_mul_f16_sdwa v71, v32, s14 dst_sel:DWORD dst_unused:UNUSED_PAD src0_sel:WORD_1 src1_sel:DWORD
	v_add_f16_e32 v20, v22, v20
	;; [unrolled: 3-line block ×8, first 2 shown]
	v_fma_f16 v20, v36, s23, v74
	v_add_f16_e32 v20, v20, v22
	v_pk_mul_f16 v22, v26, s27 op_sel_hi:[1,0]
	v_pk_fma_f16 v51, v30, s22, v22 op_sel:[0,0,1] op_sel_hi:[1,0,0] neg_lo:[0,0,1] neg_hi:[0,0,1]
	v_pk_fma_f16 v54, v30, s22, v22 op_sel:[0,0,1] op_sel_hi:[1,0,0]
	v_pk_mul_f16 v22, v27, s16 op_sel_hi:[1,0]
	v_pk_fma_f16 v55, v29, s7, v22 op_sel:[0,0,1] op_sel_hi:[1,0,0] neg_lo:[0,0,1] neg_hi:[0,0,1]
	v_pk_fma_f16 v56, v29, s7, v22 op_sel:[0,0,1] op_sel_hi:[1,0,0]
	;; [unrolled: 3-line block ×4, first 2 shown]
	v_pk_mul_f16 v22, v34, s23 op_sel_hi:[1,0]
	v_pk_mul_f16 v23, v36, s15 op_sel_hi:[1,0]
	v_pk_fma_f16 v63, v37, s21, v22 op_sel:[0,0,1] op_sel_hi:[1,0,0] neg_lo:[0,0,1] neg_hi:[0,0,1]
	v_pk_fma_f16 v64, v37, s21, v22 op_sel:[0,0,1] op_sel_hi:[1,0,0]
	v_add_f16_e32 v22, v8, v51
	v_pk_fma_f16 v67, v38, s18, v23 op_sel:[0,0,1] op_sel_hi:[1,0,0] neg_lo:[0,0,1] neg_hi:[0,0,1]
	v_pk_fma_f16 v68, v38, s18, v23 op_sel:[0,0,1] op_sel_hi:[1,0,0]
	v_add_f16_sdwa v23, v8, v54 dst_sel:DWORD dst_unused:UNUSED_PAD src0_sel:WORD_1 src1_sel:WORD_1
	v_add_f16_e32 v22, v55, v22
	v_add_f16_sdwa v23, v56, v23 dst_sel:DWORD dst_unused:UNUSED_PAD src0_sel:WORD_1 src1_sel:DWORD
	v_add_f16_e32 v22, v57, v22
	v_add_f16_sdwa v23, v58, v23 dst_sel:DWORD dst_unused:UNUSED_PAD src0_sel:WORD_1 src1_sel:DWORD
	;; [unrolled: 2-line block ×5, first 2 shown]
	s_barrier
	s_and_saveexec_b64 s[4:5], vcc
	s_cbranch_execz .LBB0_21
; %bb.20:
	v_mul_f16_sdwa v75, v30, s21 dst_sel:DWORD dst_unused:UNUSED_PAD src0_sel:WORD_1 src1_sel:DWORD
	v_fma_f16 v76, v26, s24, v75
	v_mul_f16_sdwa v77, v29, s8 dst_sel:DWORD dst_unused:UNUSED_PAD src0_sel:WORD_1 src1_sel:DWORD
	v_add_f16_sdwa v76, v8, v76 dst_sel:DWORD dst_unused:UNUSED_PAD src0_sel:WORD_1 src1_sel:DWORD
	v_fma_f16 v78, v27, s17, v77
	v_add_f16_e32 v76, v78, v76
	v_mul_f16_sdwa v78, v32, s7 dst_sel:DWORD dst_unused:UNUSED_PAD src0_sel:WORD_1 src1_sel:DWORD
	s_movk_i32 s25, 0x3a95
	v_fma_f16 v79, v28, s25, v78
	v_add_f16_e32 v76, v79, v76
	v_mul_f16_sdwa v79, v35, s18 dst_sel:DWORD dst_unused:UNUSED_PAD src0_sel:WORD_1 src1_sel:DWORD
	v_fma_f16 v80, v33, s15, v79
	v_add_f16_e32 v76, v80, v76
	v_mul_f16_sdwa v80, v37, s22 dst_sel:DWORD dst_unused:UNUSED_PAD src0_sel:WORD_1 src1_sel:DWORD
	;; [unrolled: 3-line block ×4, first 2 shown]
	v_fma_f16 v83, v30, s21, v82
	v_mul_f16_sdwa v84, v27, s20 dst_sel:DWORD dst_unused:UNUSED_PAD src0_sel:WORD_1 src1_sel:DWORD
	v_add_f16_e32 v83, v8, v83
	v_fma_f16 v85, v29, s8, v84
	v_add_f16_e32 v83, v85, v83
	v_mul_f16_sdwa v85, v28, s16 dst_sel:DWORD dst_unused:UNUSED_PAD src0_sel:WORD_1 src1_sel:DWORD
	v_fma_f16 v86, v32, s7, v85
	s_movk_i32 s28, 0x33a8
	v_add_f16_e32 v83, v86, v83
	v_mul_f16_sdwa v86, v33, s28 dst_sel:DWORD dst_unused:UNUSED_PAD src0_sel:WORD_1 src1_sel:DWORD
	v_fma_f16 v87, v35, s18, v86
	v_add_f16_e32 v83, v87, v83
	v_mul_f16_sdwa v87, v34, s19 dst_sel:DWORD dst_unused:UNUSED_PAD src0_sel:WORD_1 src1_sel:DWORD
	v_fma_f16 v88, v37, s22, v87
	v_add_f16_e32 v83, v88, v83
	v_mul_f16_sdwa v88, v36, s9 dst_sel:DWORD dst_unused:UNUSED_PAD src0_sel:WORD_1 src1_sel:DWORD
	v_fma_f16 v89, v38, s14, v88
	v_add_f16_e32 v83, v89, v83
	v_mul_f16_sdwa v89, v30, s14 dst_sel:DWORD dst_unused:UNUSED_PAD src0_sel:WORD_1 src1_sel:DWORD
	v_fma_f16 v90, v26, s26, v89
	v_mul_f16_sdwa v91, v29, s21 dst_sel:DWORD dst_unused:UNUSED_PAD src0_sel:WORD_1 src1_sel:DWORD
	v_add_f16_sdwa v90, v8, v90 dst_sel:DWORD dst_unused:UNUSED_PAD src0_sel:WORD_1 src1_sel:DWORD
	v_fma_f16 v92, v27, s23, v91
	v_add_f16_e32 v90, v92, v90
	v_mul_f16_sdwa v92, v32, s22 dst_sel:DWORD dst_unused:UNUSED_PAD src0_sel:WORD_1 src1_sel:DWORD
	v_fma_f16 v93, v28, s27, v92
	v_add_f16_e32 v90, v93, v90
	v_mul_f16_sdwa v93, v35, s8 dst_sel:DWORD dst_unused:UNUSED_PAD src0_sel:WORD_1 src1_sel:DWORD
	;; [unrolled: 3-line block ×5, first 2 shown]
	v_fma_f16 v97, v30, s14, v96
	v_mul_f16_sdwa v98, v27, s24 dst_sel:DWORD dst_unused:UNUSED_PAD src0_sel:WORD_1 src1_sel:DWORD
	v_add_f16_e32 v97, v8, v97
	v_fma_f16 v99, v29, s21, v98
	v_add_f16_e32 v97, v99, v97
	v_mul_f16_sdwa v99, v28, s19 dst_sel:DWORD dst_unused:UNUSED_PAD src0_sel:WORD_1 src1_sel:DWORD
	v_fma_f16 v100, v32, s22, v99
	v_add_f16_e32 v97, v100, v97
	v_mul_f16_sdwa v100, v33, s17 dst_sel:DWORD dst_unused:UNUSED_PAD src0_sel:WORD_1 src1_sel:DWORD
	v_fma_f16 v101, v35, s8, v100
	v_add_f16_e32 v97, v101, v97
	v_mul_f16_sdwa v101, v34, s28 dst_sel:DWORD dst_unused:UNUSED_PAD src0_sel:WORD_1 src1_sel:DWORD
	v_fma_f16 v102, v37, s18, v101
	v_add_f16_e32 v97, v102, v97
	v_mul_f16_sdwa v102, v36, s25 dst_sel:DWORD dst_unused:UNUSED_PAD src0_sel:WORD_1 src1_sel:DWORD
	v_fma_f16 v103, v38, s7, v102
	v_add_f16_e32 v97, v103, v97
	v_mul_f16_e32 v103, 0xbbf1, v26
	v_sub_f16_e32 v69, v69, v103
	v_mul_f16_e32 v103, 0xb3a8, v27
	v_sub_f16_e32 v70, v70, v103
	v_add_f16_sdwa v69, v8, v69 dst_sel:DWORD dst_unused:UNUSED_PAD src0_sel:WORD_1 src1_sel:DWORD
	v_add_f16_e32 v69, v70, v69
	v_mul_f16_e32 v70, 0x3b7b, v28
	v_sub_f16_e32 v70, v71, v70
	v_add_f16_e32 v69, v70, v69
	v_mul_f16_e32 v70, 0x3770, v33
	v_sub_f16_e32 v70, v72, v70
	;; [unrolled: 3-line block ×4, first 2 shown]
	v_add_f16_e32 v69, v70, v69
	v_mul_f16_e32 v70, 0x2fb7, v30
	v_add_f16_e32 v44, v70, v44
	v_mul_f16_e32 v70, 0xbbc4, v29
	v_add_f16_e32 v43, v70, v43
	v_add_f16_e32 v44, v8, v44
	;; [unrolled: 1-line block ×3, first 2 shown]
	v_mul_f16_e32 v44, 0xb5ac, v32
	v_add_f16_e32 v44, v44, v45
	v_add_f16_e32 v43, v44, v43
	v_mul_f16_e32 v44, 0x3b15, v35
	v_add_f16_e32 v44, v44, v47
	v_add_f16_e32 v43, v44, v43
	;; [unrolled: 3-line block ×4, first 2 shown]
	v_mul_f16_e32 v44, 0xba95, v26
	v_sub_f16_e32 v44, v52, v44
	v_mul_f16_e32 v45, 0xbb7b, v27
	v_sub_f16_e32 v45, v53, v45
	v_add_f16_sdwa v44, v8, v44 dst_sel:DWORD dst_unused:UNUSED_PAD src0_sel:WORD_1 src1_sel:DWORD
	v_add_f16_e32 v44, v45, v44
	v_mul_f16_e32 v45, 0xb3a8, v28
	v_sub_f16_e32 v45, v59, v45
	v_add_f16_e32 v44, v45, v44
	v_mul_f16_e32 v45, 0x394e, v33
	v_sub_f16_e32 v45, v62, v45
	;; [unrolled: 3-line block ×4, first 2 shown]
	v_add_f16_e32 v44, v45, v44
	v_mul_f16_e32 v45, 0x388b, v30
	v_add_f16_e32 v40, v45, v40
	v_mul_f16_e32 v45, 0xb5ac, v29
	v_add_f16_e32 v39, v45, v39
	v_add_f16_e32 v40, v8, v40
	;; [unrolled: 1-line block ×3, first 2 shown]
	v_mul_f16_e32 v40, 0xbbc4, v32
	v_add_f16_e32 v40, v40, v41
	v_add_f16_e32 v39, v40, v39
	v_mul_f16_e32 v40, 0xb9fd, v35
	v_add_f16_e32 v40, v40, v42
	v_add_f16_e32 v39, v40, v39
	;; [unrolled: 3-line block ×3, first 2 shown]
	v_mul_f16_e32 v40, 0x3b15, v38
	v_add_f16_e32 v40, v40, v48
	v_fma_f16 v48, v26, s23, v75
	v_add_f16_sdwa v48, v8, v48 dst_sel:DWORD dst_unused:UNUSED_PAD src0_sel:WORD_1 src1_sel:DWORD
	v_fma_f16 v49, v27, s20, v77
	v_add_f16_e32 v48, v49, v48
	v_fma_f16 v49, v28, s16, v78
	v_add_f16_e32 v48, v49, v48
	;; [unrolled: 2-line block ×5, first 2 shown]
	v_fma_f16 v49, v30, s21, -v82
	v_add_f16_e32 v49, v8, v49
	v_fma_f16 v50, v29, s8, -v84
	v_add_f16_e32 v49, v50, v49
	;; [unrolled: 2-line block ×3, first 2 shown]
	v_fma_f16 v50, v35, s18, -v86
	v_pk_add_f16 v9, v8, v9
	v_add_f16_e32 v49, v50, v49
	v_fma_f16 v50, v37, s22, -v87
	v_add_f16_e32 v49, v50, v49
	v_fma_f16 v50, v38, s14, -v88
	v_pk_add_f16 v9, v9, v12
	s_mov_b32 s26, 0xffff
	v_add_f16_e32 v49, v50, v49
	v_fma_f16 v50, v26, s9, v89
	v_pk_add_f16 v9, v9, v13
	v_add_f16_e32 v39, v40, v39
	v_bfi_b32 v40, s26, v54, v51
	v_add_f16_sdwa v50, v8, v50 dst_sel:DWORD dst_unused:UNUSED_PAD src0_sel:WORD_1 src1_sel:DWORD
	v_fma_f16 v51, v27, s24, v91
	v_pk_add_f16 v9, v9, v16
	v_add_f16_e32 v50, v51, v50
	v_fma_f16 v51, v28, s19, v92
	v_pk_add_f16 v9, v9, v17
	v_add_f16_e32 v50, v51, v50
	;; [unrolled: 3-line block ×5, first 2 shown]
	v_fma_f16 v51, v30, s14, -v96
	v_pk_add_f16 v9, v9, v15
	v_bfi_b32 v41, s26, v56, v55
	v_add_f16_e32 v51, v8, v51
	v_fma_f16 v52, v29, s21, -v98
	v_pk_add_f16 v9, v9, v10
	v_pk_add_f16 v10, v8, v40
	v_bfi_b32 v42, s26, v58, v57
	v_add_f16_e32 v51, v52, v51
	v_fma_f16 v52, v32, s22, -v99
	v_pk_add_f16 v10, v41, v10
	v_bfi_b32 v45, s26, v61, v60
	v_add_f16_e32 v51, v52, v51
	v_fma_f16 v52, v35, s8, -v100
	;; [unrolled: 4-line block ×4, first 2 shown]
	v_pk_add_f16 v9, v9, v11
	v_pk_add_f16 v10, v46, v10
	v_add_f16_e32 v51, v52, v51
	v_mad_u32_u24 v52, v5, 48, v0
	v_pk_add_f16 v9, v9, v31
	v_pk_add_f16 v10, v47, v10
	ds_write2_b32 v52, v9, v10 offset1:1
	v_pack_b32_f16 v9, v43, v69
	v_pack_b32_f16 v10, v39, v44
	ds_write2_b32 v52, v10, v9 offset0:2 offset1:3
	v_pack_b32_f16 v9, v83, v76
	v_pack_b32_f16 v10, v97, v90
	ds_write2_b32 v52, v10, v9 offset0:4 offset1:5
	v_pk_mul_f16 v9, v30, s18 op_sel_hi:[1,0]
	v_pk_fma_f16 v10, v26, s15, v9 op_sel:[0,0,1] op_sel_hi:[1,0,0]
	v_pk_mul_f16 v12, v29, s22 op_sel_hi:[1,0]
	v_alignbit_b32 v11, s0, v10, 16
	v_pk_fma_f16 v13, v27, s19, v12 op_sel:[0,0,1] op_sel_hi:[1,0,0]
	v_pk_add_f16 v11, v8, v11
	v_alignbit_b32 v14, s0, v13, 16
	v_pk_add_f16 v11, v14, v11
	v_pk_mul_f16 v14, v32, s21 op_sel_hi:[1,0]
	v_pk_fma_f16 v15, v28, s23, v14 op_sel:[0,0,1] op_sel_hi:[1,0,0]
	v_alignbit_b32 v16, s0, v15, 16
	v_pk_add_f16 v11, v16, v11
	v_pk_mul_f16 v16, v35, s7 op_sel_hi:[1,0]
	v_pk_fma_f16 v17, v33, s25, v16 op_sel:[0,0,1] op_sel_hi:[1,0,0]
	;; [unrolled: 4-line block ×4, first 2 shown]
	v_alignbit_b32 v31, s0, v30, 16
	v_pk_add_f16 v11, v31, v11
	v_alignbit_b32 v31, s0, v8, 16
	v_pk_fma_f16 v9, v26, s15, v9 op_sel:[0,0,1] op_sel_hi:[1,0,0] neg_lo:[1,0,0] neg_hi:[1,0,0]
	v_pk_add_f16 v10, v31, v10
	v_pk_add_f16 v8, v8, v9 op_sel:[1,0] op_sel_hi:[0,1]
	v_pk_fma_f16 v9, v27, s19, v12 op_sel:[0,0,1] op_sel_hi:[1,0,0] neg_lo:[1,0,0] neg_hi:[1,0,0]
	v_pk_add_f16 v10, v13, v10
	v_pk_add_f16 v8, v9, v8
	v_pk_fma_f16 v9, v28, s23, v14 op_sel:[0,0,1] op_sel_hi:[1,0,0] neg_lo:[1,0,0] neg_hi:[1,0,0]
	v_pk_add_f16 v10, v15, v10
	v_pk_add_f16 v8, v9, v8
	;; [unrolled: 3-line block ×5, first 2 shown]
	v_alignbit_b32 v9, v10, v8, 16
	v_pack_b32_f16 v8, v11, v8
	ds_write2_b32 v52, v8, v9 offset0:6 offset1:7
	v_pack_b32_f16 v8, v51, v50
	v_pack_b32_f16 v9, v49, v48
	ds_write2_b32 v52, v9, v8 offset0:8 offset1:9
	v_perm_b32 v8, v21, v7, s6
	v_perm_b32 v9, v20, v6, s6
	ds_write2_b32 v52, v9, v8 offset0:10 offset1:11
	v_perm_b32 v8, v23, v22, s6
	ds_write_b32 v52, v8 offset:48
.LBB0_21:
	s_or_b64 exec, exec, s[4:5]
	s_movk_i32 s4, 0x4f
	v_mul_lo_u16_sdwa v8, v5, s4 dst_sel:DWORD dst_unused:UNUSED_PAD src0_sel:BYTE_0 src1_sel:DWORD
	v_lshrrev_b16_e32 v32, 10, v8
	v_mul_lo_u16_e32 v8, 13, v32
	v_sub_u16_e32 v33, v5, v8
	v_mov_b32_e32 v8, 9
	v_mul_u32_u24_sdwa v8, v33, v8 dst_sel:DWORD dst_unused:UNUSED_PAD src0_sel:BYTE_0 src1_sel:DWORD
	v_lshlrev_b32_e32 v16, 2, v8
	s_waitcnt lgkmcnt(0)
	s_barrier
	global_load_dwordx4 v[8:11], v16, s[12:13]
	global_load_dwordx4 v[12:15], v16, s[12:13] offset:16
	global_load_dword v30, v16, s[12:13] offset:32
	v_add_u32_e32 v26, 0xa00, v0
	v_add_u32_e32 v28, 0xf00, v0
	ds_read2_b32 v[16:17], v0 offset1:169
	ds_read2_b32 v[18:19], v24 offset0:82 offset1:251
	ds_read2_b32 v[24:25], v25 offset0:72 offset1:241
	;; [unrolled: 1-line block ×4, first 2 shown]
	s_mov_b32 s4, 0xbb9c
	s_waitcnt lgkmcnt(4)
	v_lshrrev_b32_e32 v36, 16, v17
	s_waitcnt lgkmcnt(3)
	v_lshrrev_b32_e32 v37, 16, v18
	;; [unrolled: 2-line block ×4, first 2 shown]
	v_lshrrev_b32_e32 v34, 16, v24
	v_lshrrev_b32_e32 v35, 16, v25
	;; [unrolled: 1-line block ×4, first 2 shown]
	s_movk_i32 s7, 0x3b9c
	s_mov_b32 s5, 0xb8b4
	s_movk_i32 s8, 0x38b4
	s_movk_i32 s6, 0x34f2
	v_lshrrev_b32_e32 v31, 16, v16
	v_lshrrev_b32_e32 v42, 16, v27
	v_mul_u32_u24_e32 v32, 0x208, v32
	s_waitcnt vmcnt(0)
	s_barrier
	v_mul_f16_sdwa v49, v11, v41 dst_sel:DWORD dst_unused:UNUSED_PAD src0_sel:WORD_1 src1_sel:DWORD
	v_mul_f16_sdwa v53, v39, v13 dst_sel:DWORD dst_unused:UNUSED_PAD src0_sel:DWORD src1_sel:WORD_1
	v_mul_f16_sdwa v45, v9, v37 dst_sel:DWORD dst_unused:UNUSED_PAD src0_sel:WORD_1 src1_sel:DWORD
	v_mul_f16_sdwa v46, v9, v18 dst_sel:DWORD dst_unused:UNUSED_PAD src0_sel:WORD_1 src1_sel:DWORD
	v_mul_f16_sdwa v50, v11, v26 dst_sel:DWORD dst_unused:UNUSED_PAD src0_sel:WORD_1 src1_sel:DWORD
	v_mul_f16_sdwa v54, v28, v13 dst_sel:DWORD dst_unused:UNUSED_PAD src0_sel:DWORD src1_sel:WORD_1
	v_mul_f16_sdwa v57, v34, v15 dst_sel:DWORD dst_unused:UNUSED_PAD src0_sel:DWORD src1_sel:WORD_1
	;; [unrolled: 1-line block ×5, first 2 shown]
	v_fma_f16 v26, v11, v26, v49
	v_fma_f16 v28, v28, v13, v53
	v_mul_f16_sdwa v43, v8, v36 dst_sel:DWORD dst_unused:UNUSED_PAD src0_sel:WORD_1 src1_sel:DWORD
	v_mul_f16_sdwa v44, v8, v17 dst_sel:DWORD dst_unused:UNUSED_PAD src0_sel:WORD_1 src1_sel:DWORD
	;; [unrolled: 1-line block ×4, first 2 shown]
	v_fma_f16 v18, v9, v18, v45
	v_fma_f16 v9, v9, v37, -v46
	v_fma_f16 v24, v24, v15, v57
	v_fma_f16 v15, v34, v15, -v58
	;; [unrolled: 2-line block ×3, first 2 shown]
	v_add_f16_e32 v35, v26, v28
	v_mul_f16_sdwa v55, v40, v14 dst_sel:DWORD dst_unused:UNUSED_PAD src0_sel:DWORD src1_sel:WORD_1
	v_mul_f16_sdwa v56, v29, v14 dst_sel:DWORD dst_unused:UNUSED_PAD src0_sel:DWORD src1_sel:WORD_1
	v_fma_f16 v17, v8, v17, v43
	v_fma_f16 v8, v8, v36, -v44
	v_fma_f16 v19, v10, v19, v47
	v_fma_f16 v10, v10, v38, -v48
	v_fma_f16 v11, v11, v41, -v50
	;; [unrolled: 1-line block ×3, first 2 shown]
	v_sub_f16_e32 v36, v9, v15
	v_sub_f16_e32 v38, v18, v26
	;; [unrolled: 1-line block ×3, first 2 shown]
	v_fma_f16 v35, v35, -0.5, v16
	v_fma_f16 v29, v29, v14, v55
	v_fma_f16 v14, v40, v14, -v56
	v_sub_f16_e32 v37, v11, v13
	v_add_f16_e32 v40, v18, v24
	v_add_f16_e32 v38, v38, v39
	v_fma_f16 v39, v36, s4, v35
	v_fma_f16 v35, v36, s7, v35
	v_add_f16_e32 v34, v16, v18
	v_fma_f16 v16, v40, -0.5, v16
	v_fma_f16 v39, v37, s5, v39
	v_fma_f16 v35, v37, s8, v35
	v_sub_f16_e32 v41, v26, v18
	v_add_f16_e32 v34, v34, v26
	v_fma_f16 v40, v37, s7, v16
	v_fma_f16 v39, v38, s6, v39
	;; [unrolled: 1-line block ×3, first 2 shown]
	v_sub_f16_e32 v38, v28, v24
	v_fma_f16 v16, v37, s4, v16
	v_add_f16_e32 v37, v11, v13
	v_add_f16_e32 v34, v34, v28
	v_fma_f16 v40, v36, s5, v40
	v_add_f16_e32 v38, v41, v38
	v_fma_f16 v16, v36, s8, v16
	v_fma_f16 v37, v37, -0.5, v31
	v_sub_f16_e32 v18, v18, v24
	v_add_f16_e32 v34, v34, v24
	v_fma_f16 v40, v38, s6, v40
	v_fma_f16 v16, v38, s6, v16
	v_fma_f16 v24, v18, s7, v37
	v_sub_f16_e32 v26, v26, v28
	v_sub_f16_e32 v28, v9, v11
	;; [unrolled: 1-line block ×3, first 2 shown]
	v_fma_f16 v37, v18, s4, v37
	v_fma_f16 v24, v26, s8, v24
	v_add_f16_e32 v28, v28, v38
	v_fma_f16 v37, v26, s5, v37
	v_add_f16_e32 v36, v31, v9
	v_fma_f16 v24, v28, s6, v24
	v_fma_f16 v37, v28, s6, v37
	v_add_f16_e32 v28, v9, v15
	v_add_f16_e32 v36, v36, v11
	v_fma_f16 v28, v28, -0.5, v31
	v_sub_f16_e32 v9, v11, v9
	v_sub_f16_e32 v11, v13, v15
	v_fma_f16 v31, v26, s4, v28
	v_add_f16_e32 v9, v9, v11
	v_fma_f16 v11, v26, s7, v28
	v_mul_f16_sdwa v51, v12, v42 dst_sel:DWORD dst_unused:UNUSED_PAD src0_sel:WORD_1 src1_sel:DWORD
	v_fma_f16 v31, v18, s8, v31
	v_fma_f16 v11, v18, s5, v11
	v_mul_f16_sdwa v52, v12, v27 dst_sel:DWORD dst_unused:UNUSED_PAD src0_sel:WORD_1 src1_sel:DWORD
	v_fma_f16 v27, v12, v27, v51
	v_fma_f16 v38, v9, s6, v31
	;; [unrolled: 1-line block ×3, first 2 shown]
	v_add_f16_e32 v9, v17, v19
	v_add_f16_e32 v9, v9, v27
	v_add_f16_e32 v9, v9, v29
	v_add_f16_e32 v11, v9, v25
	v_add_f16_e32 v9, v27, v29
	v_fma_f16 v12, v12, v42, -v52
	v_add_f16_e32 v36, v36, v13
	v_fma_f16 v9, v9, -0.5, v17
	v_sub_f16_e32 v13, v10, v30
	v_add_f16_e32 v36, v36, v15
	v_fma_f16 v15, v13, s4, v9
	v_sub_f16_e32 v18, v12, v14
	v_sub_f16_e32 v28, v19, v27
	v_sub_f16_e32 v31, v25, v29
	v_fma_f16 v9, v13, s7, v9
	v_add_f16_e32 v28, v28, v31
	v_fma_f16 v9, v18, s8, v9
	v_fma_f16 v31, v28, s6, v9
	v_add_f16_e32 v9, v19, v25
	v_fma_f16 v15, v18, s5, v15
	v_fma_f16 v9, v9, -0.5, v17
	v_fma_f16 v15, v28, s6, v15
	v_fma_f16 v17, v18, s7, v9
	v_sub_f16_e32 v28, v27, v19
	v_sub_f16_e32 v41, v29, v25
	v_fma_f16 v9, v18, s4, v9
	v_fma_f16 v17, v13, s5, v17
	v_add_f16_e32 v28, v28, v41
	v_fma_f16 v9, v13, s8, v9
	v_fma_f16 v17, v28, s6, v17
	;; [unrolled: 1-line block ×3, first 2 shown]
	v_add_f16_e32 v9, v8, v10
	v_add_f16_e32 v9, v9, v12
	;; [unrolled: 1-line block ×5, first 2 shown]
	v_fma_f16 v9, v9, -0.5, v8
	v_sub_f16_e32 v13, v19, v25
	v_fma_f16 v18, v13, s7, v9
	v_sub_f16_e32 v19, v27, v29
	v_sub_f16_e32 v25, v10, v12
	;; [unrolled: 1-line block ×3, first 2 shown]
	v_fma_f16 v9, v13, s4, v9
	v_add_f16_e32 v25, v25, v27
	v_fma_f16 v9, v19, s5, v9
	v_fma_f16 v29, v25, s6, v9
	v_add_f16_e32 v9, v10, v30
	v_fma_f16 v8, v9, -0.5, v8
	v_fma_f16 v18, v19, s8, v18
	v_fma_f16 v9, v19, s4, v8
	v_sub_f16_e32 v10, v12, v10
	v_sub_f16_e32 v12, v14, v30
	v_fma_f16 v27, v25, s6, v18
	v_fma_f16 v9, v13, s8, v9
	v_add_f16_e32 v10, v10, v12
	v_fma_f16 v8, v19, s7, v8
	v_fma_f16 v30, v10, s6, v9
	;; [unrolled: 1-line block ×3, first 2 shown]
	v_mul_f16_e32 v9, 0xb8b4, v27
	s_movk_i32 s4, 0x3a79
	v_mul_f16_e32 v25, 0x3a79, v27
	v_fma_f16 v10, v10, s6, v8
	v_fma_f16 v19, v15, s4, v9
	;; [unrolled: 1-line block ×3, first 2 shown]
	v_mul_f16_e32 v15, 0x34f2, v30
	v_add_f16_e32 v8, v34, v11
	v_mul_f16_e32 v12, 0xbb9c, v30
	v_mul_f16_e32 v13, 0xbb9c, v10
	s_mov_b32 s4, 0xb4f2
	v_fma_f16 v46, v17, s7, v15
	v_mul_f16_e32 v10, 0xb4f2, v10
	v_sub_f16_e32 v15, v34, v11
	v_mov_b32_e32 v34, 2
	v_add_f16_e32 v9, v39, v19
	v_fma_f16 v42, v17, s6, v12
	v_fma_f16 v43, v28, s4, v13
	v_mul_f16_e32 v14, 0xb8b4, v29
	s_mov_b32 s4, 0xba79
	v_add_f16_e32 v18, v36, v41
	v_add_f16_e32 v25, v24, v45
	v_fma_f16 v47, v28, s7, v10
	v_mul_f16_e32 v10, 0xba79, v29
	v_lshlrev_b32_sdwa v33, v34, v33 dst_sel:DWORD dst_unused:UNUSED_PAD src0_sel:DWORD src1_sel:BYTE_0
	v_add_f16_e32 v12, v40, v42
	v_add_f16_e32 v13, v16, v43
	v_fma_f16 v44, v31, s4, v14
	v_add_f16_e32 v27, v38, v46
	v_add_f16_e32 v28, v26, v47
	v_fma_f16 v48, v31, s8, v10
	v_add3_u32 v32, 0, v32, v33
	v_pack_b32_f16 v33, v8, v18
	v_pack_b32_f16 v34, v9, v25
	v_add_f16_e32 v14, v35, v44
	v_add_f16_e32 v29, v37, v48
	v_sub_f16_e32 v31, v36, v41
	ds_write2_b32 v32, v33, v34 offset1:13
	v_pack_b32_f16 v33, v12, v27
	v_pack_b32_f16 v34, v13, v28
	v_sub_f16_e32 v10, v39, v19
	v_sub_f16_e32 v11, v40, v42
	;; [unrolled: 1-line block ×4, first 2 shown]
	ds_write2_b32 v32, v33, v34 offset0:26 offset1:39
	v_pack_b32_f16 v33, v14, v29
	v_pack_b32_f16 v34, v15, v31
	v_sub_f16_e32 v16, v16, v43
	v_sub_f16_e32 v17, v35, v44
	;; [unrolled: 1-line block ×4, first 2 shown]
	ds_write2_b32 v32, v33, v34 offset0:52 offset1:65
	v_pack_b32_f16 v33, v10, v30
	v_pack_b32_f16 v34, v11, v19
	ds_write2_b32 v32, v33, v34 offset0:78 offset1:91
	v_pack_b32_f16 v33, v16, v24
	v_pack_b32_f16 v34, v17, v26
	ds_write2_b32 v32, v33, v34 offset0:104 offset1:117
	s_waitcnt lgkmcnt(0)
	s_barrier
	s_and_saveexec_b64 s[4:5], vcc
	s_cbranch_execz .LBB0_23
; %bb.22:
	v_add_u32_e32 v6, 0x400, v0
	ds_read2_b32 v[8:9], v0 offset1:130
	v_add_u32_e32 v7, 0x800, v0
	ds_read2_b32 v[12:13], v6 offset0:4 offset1:134
	ds_read2_b32 v[14:15], v7 offset0:8 offset1:138
	v_add_u32_e32 v6, 0x1000, v0
	v_add_u32_e32 v10, 0xc00, v0
	ds_read2_b32 v[16:17], v6 offset0:16 offset1:146
	v_add_u32_e32 v6, 0x1400, v0
	ds_read2_b32 v[6:7], v6 offset0:20 offset1:150
	ds_read2_b32 v[10:11], v10 offset0:12 offset1:142
	ds_read_b32 v22, v0 offset:6240
	s_waitcnt lgkmcnt(6)
	v_lshrrev_b32_e32 v18, 16, v8
	v_lshrrev_b32_e32 v25, 16, v9
	s_waitcnt lgkmcnt(3)
	v_lshrrev_b32_e32 v24, 16, v16
	v_lshrrev_b32_e32 v26, 16, v17
	;; [unrolled: 3-line block ×4, first 2 shown]
	v_lshrrev_b32_e32 v28, 16, v13
	v_lshrrev_b32_e32 v29, 16, v14
	;; [unrolled: 1-line block ×5, first 2 shown]
.LBB0_23:
	s_or_b64 exec, exec, s[4:5]
	s_barrier
	s_and_saveexec_b64 s[4:5], vcc
	s_cbranch_execz .LBB0_25
; %bb.24:
	v_add_u32_e32 v32, 0xffffff7e, v5
	v_cndmask_b32_e32 v32, v32, v5, vcc
	v_mul_i32_i24_e32 v32, 12, v32
	v_mov_b32_e32 v33, 0
	v_lshlrev_b64 v[32:33], 2, v[32:33]
	v_mov_b32_e32 v34, s13
	v_add_co_u32_e32 v44, vcc, s12, v32
	v_addc_co_u32_e32 v45, vcc, v34, v33, vcc
	global_load_dwordx4 v[32:35], v[44:45], off offset:500
	global_load_dwordx4 v[36:39], v[44:45], off offset:468
	;; [unrolled: 1-line block ×3, first 2 shown]
	s_movk_i32 s17, 0x33a8
	s_mov_b32 s9, 0xb770
	s_movk_i32 s15, 0x394e
	s_mov_b32 s14, 0xba95
	;; [unrolled: 2-line block ×3, first 2 shown]
	s_mov_b32 s6, 0xbbc4
	s_movk_i32 s7, 0x3b15
	s_mov_b32 s8, 0xb9fd
	s_movk_i32 s12, 0x388b
	;; [unrolled: 2-line block ×3, first 2 shown]
	s_movk_i32 s24, 0x3a95
	s_mov_b32 s19, 0xb3a8
	s_mov_b32 s21, 0xb94e
	s_movk_i32 s23, 0x3bf1
	s_movk_i32 s25, 0x3770
	s_mov_b32 s22, 0xbb7b
	s_waitcnt vmcnt(2)
	v_mul_f16_sdwa v44, v22, v35 dst_sel:DWORD dst_unused:UNUSED_PAD src0_sel:DWORD src1_sel:WORD_1
	s_waitcnt vmcnt(1)
	v_mul_f16_sdwa v45, v9, v36 dst_sel:DWORD dst_unused:UNUSED_PAD src0_sel:DWORD src1_sel:WORD_1
	v_mul_f16_sdwa v46, v25, v36 dst_sel:DWORD dst_unused:UNUSED_PAD src0_sel:DWORD src1_sel:WORD_1
	;; [unrolled: 1-line block ×7, first 2 shown]
	v_fma_f16 v23, v23, v35, -v44
	v_fma_f16 v25, v25, v36, -v45
	v_mul_f16_sdwa v50, v27, v37 dst_sel:DWORD dst_unused:UNUSED_PAD src0_sel:DWORD src1_sel:WORD_1
	v_mul_f16_sdwa v51, v21, v34 dst_sel:DWORD dst_unused:UNUSED_PAD src0_sel:DWORD src1_sel:WORD_1
	v_mul_f16_sdwa v53, v13, v38 dst_sel:DWORD dst_unused:UNUSED_PAD src0_sel:DWORD src1_sel:WORD_1
	v_fma_f16 v9, v9, v36, v46
	v_fma_f16 v22, v22, v35, v47
	v_fma_f16 v21, v21, v34, -v48
	v_fma_f16 v27, v27, v37, -v49
	;; [unrolled: 1-line block ×3, first 2 shown]
	v_fma_f16 v6, v6, v33, v55
	v_add_f16_e32 v33, v25, v23
	v_mul_f16_sdwa v54, v28, v38 dst_sel:DWORD dst_unused:UNUSED_PAD src0_sel:DWORD src1_sel:WORD_1
	v_mul_f16_sdwa v56, v17, v32 dst_sel:DWORD dst_unused:UNUSED_PAD src0_sel:DWORD src1_sel:WORD_1
	;; [unrolled: 1-line block ×3, first 2 shown]
	v_fma_f16 v12, v12, v37, v50
	v_fma_f16 v7, v7, v34, v51
	v_fma_f16 v28, v28, v38, -v53
	v_sub_f16_e32 v34, v9, v22
	v_add_f16_e32 v35, v27, v21
	v_mul_f16_e32 v45, 0xbbc4, v33
	v_mul_f16_sdwa v58, v29, v39 dst_sel:DWORD dst_unused:UNUSED_PAD src0_sel:DWORD src1_sel:WORD_1
	v_mul_f16_sdwa v59, v26, v32 dst_sel:DWORD dst_unused:UNUSED_PAD src0_sel:DWORD src1_sel:WORD_1
	s_waitcnt vmcnt(0)
	v_mul_f16_sdwa v60, v16, v43 dst_sel:DWORD dst_unused:UNUSED_PAD src0_sel:DWORD src1_sel:WORD_1
	v_mul_f16_sdwa v61, v15, v40 dst_sel:DWORD dst_unused:UNUSED_PAD src0_sel:DWORD src1_sel:WORD_1
	v_fma_f16 v13, v13, v38, v54
	v_fma_f16 v26, v26, v32, -v56
	v_fma_f16 v29, v29, v39, -v57
	v_sub_f16_e32 v36, v12, v7
	v_add_f16_e32 v37, v28, v20
	v_mul_f16_e32 v46, 0x3b15, v35
	v_fma_f16 v51, v34, s17, v45
	v_mul_f16_sdwa v62, v31, v40 dst_sel:DWORD dst_unused:UNUSED_PAD src0_sel:DWORD src1_sel:WORD_1
	v_mul_f16_sdwa v63, v24, v43 dst_sel:DWORD dst_unused:UNUSED_PAD src0_sel:DWORD src1_sel:WORD_1
	;; [unrolled: 1-line block ×5, first 2 shown]
	v_fma_f16 v14, v14, v39, v58
	v_fma_f16 v17, v17, v32, v59
	v_fma_f16 v24, v24, v43, -v60
	v_fma_f16 v31, v31, v40, -v61
	v_sub_f16_e32 v38, v13, v6
	v_add_f16_e32 v39, v29, v26
	v_mul_f16_e32 v47, 0xb9fd, v37
	v_fma_f16 v52, v36, s9, v46
	v_add_f16_e32 v51, v18, v51
	v_fma_f16 v15, v15, v40, v62
	v_fma_f16 v16, v16, v43, v63
	v_fma_f16 v32, v19, v42, -v64
	v_fma_f16 v30, v30, v41, -v65
	v_fma_f16 v10, v10, v41, v66
	v_sub_f16_e32 v40, v14, v17
	v_add_f16_e32 v41, v31, v24
	v_mul_f16_e32 v48, 0x388b, v39
	v_fma_f16 v53, v38, s15, v47
	v_add_f16_e32 v51, v52, v51
	v_mul_f16_sdwa v19, v19, v42 dst_sel:DWORD dst_unused:UNUSED_PAD src0_sel:DWORD src1_sel:WORD_1
	v_sub_f16_e32 v43, v15, v16
	v_add_f16_e32 v44, v30, v32
	v_mul_f16_e32 v49, 0xb5ac, v41
	v_fma_f16 v54, v40, s14, v48
	v_add_f16_e32 v51, v53, v51
	v_fma_f16 v11, v11, v42, v19
	v_mul_f16_e32 v50, 0x2fb7, v44
	v_fma_f16 v55, v43, s18, v49
	v_add_f16_e32 v51, v54, v51
	v_sub_f16_e32 v19, v10, v11
	v_add_f16_e32 v51, v55, v51
	v_fma_f16 v42, v19, s20, v50
	v_sub_f16_e32 v52, v25, v23
	v_add_f16_e32 v42, v42, v51
	v_add_f16_e32 v51, v9, v22
	v_mul_f16_e32 v53, 0xb3a8, v52
	v_sub_f16_e32 v56, v27, v21
	v_fma_f16 v54, v51, s6, v53
	v_add_f16_e32 v55, v12, v7
	v_mul_f16_e32 v57, 0x3770, v56
	v_add_f16_e32 v54, v8, v54
	v_fma_f16 v58, v55, s7, v57
	v_sub_f16_e32 v59, v28, v20
	v_add_f16_e32 v54, v58, v54
	v_add_f16_e32 v58, v13, v6
	v_mul_f16_e32 v60, 0xb94e, v59
	v_fma_f16 v61, v58, s8, v60
	v_sub_f16_e32 v62, v29, v26
	v_add_f16_e32 v54, v61, v54
	v_add_f16_e32 v61, v14, v17
	v_mul_f16_e32 v63, 0x3a95, v62
	;; [unrolled: 5-line block ×4, first 2 shown]
	v_fma_f16 v70, v67, s16, v69
	v_add_f16_e32 v54, v70, v54
	v_mul_f16_e32 v70, 0xb9fd, v33
	v_fma_f16 v71, v34, s15, v70
	v_mul_f16_e32 v72, 0x2fb7, v35
	v_add_f16_e32 v71, v18, v71
	v_fma_f16 v73, v36, s20, v72
	v_add_f16_e32 v71, v73, v71
	v_mul_f16_e32 v73, 0x388b, v37
	v_fma_f16 v74, v38, s24, v73
	v_add_f16_e32 v71, v74, v71
	v_mul_f16_e32 v74, 0xbbc4, v39
	;; [unrolled: 3-line block ×5, first 2 shown]
	v_fma_f16 v78, v51, s8, v77
	v_mul_f16_e32 v79, 0x3bf1, v56
	v_add_f16_e32 v78, v8, v78
	v_fma_f16 v80, v55, s16, v79
	v_add_f16_e32 v78, v80, v78
	v_mul_f16_e32 v80, 0xba95, v59
	v_fma_f16 v81, v58, s12, v80
	v_add_f16_e32 v78, v81, v78
	v_mul_f16_e32 v81, 0x33a8, v62
	;; [unrolled: 3-line block ×4, first 2 shown]
	v_fma_f16 v84, v67, s13, v83
	v_add_f16_e32 v9, v8, v9
	v_add_f16_e32 v78, v84, v78
	v_mul_f16_e32 v84, 0xb5ac, v33
	v_add_f16_e32 v9, v9, v12
	v_fma_f16 v85, v34, s18, v84
	v_mul_f16_e32 v86, 0xb9fd, v35
	v_add_f16_e32 v9, v9, v13
	v_add_f16_e32 v85, v18, v85
	v_fma_f16 v87, v36, s21, v86
	v_add_f16_e32 v9, v9, v14
	v_add_f16_e32 v85, v87, v85
	v_mul_f16_e32 v87, 0x3b15, v37
	v_add_f16_e32 v9, v9, v15
	v_fma_f16 v88, v38, s9, v87
	v_add_f16_e32 v9, v9, v10
	v_add_f16_e32 v85, v88, v85
	v_mul_f16_e32 v88, 0x2fb7, v39
	;; [unrolled: 5-line block ×3, first 2 shown]
	v_add_f16_e32 v9, v9, v17
	v_fma_f16 v90, v43, s19, v89
	v_add_f16_e32 v6, v9, v6
	v_fma_f16 v9, v34, s19, v45
	v_add_f16_e32 v85, v90, v85
	v_mul_f16_e32 v90, 0x388b, v44
	v_add_f16_e32 v9, v18, v9
	v_fma_f16 v10, v36, s25, v46
	v_fma_f16 v91, v19, s14, v90
	v_add_f16_e32 v9, v10, v9
	v_fma_f16 v10, v38, s21, v47
	v_add_f16_e32 v85, v91, v85
	v_mul_f16_e32 v91, 0xbb7b, v52
	v_add_f16_e32 v9, v10, v9
	v_fma_f16 v10, v40, s24, v48
	v_fma_f16 v92, v51, s13, v91
	v_mul_f16_e32 v93, 0x394e, v56
	v_add_f16_e32 v9, v10, v9
	v_fma_f16 v10, v43, s22, v49
	v_add_f16_e32 v92, v8, v92
	v_fma_f16 v94, v55, s8, v93
	;; [unrolled: 2-line block ×3, first 2 shown]
	v_add_f16_e32 v92, v94, v92
	v_mul_f16_e32 v94, 0x3770, v59
	v_add_f16_e32 v9, v10, v9
	v_fma_f16 v10, v51, s6, -v53
	v_fma_f16 v95, v58, s7, v94
	v_add_f16_e32 v10, v8, v10
	v_fma_f16 v11, v55, s7, -v57
	v_add_f16_e32 v92, v95, v92
	v_mul_f16_e32 v95, 0xbbf1, v62
	v_add_f16_e32 v10, v11, v10
	v_fma_f16 v11, v58, s8, -v60
	v_fma_f16 v96, v61, s16, v95
	v_add_f16_e32 v10, v11, v10
	v_fma_f16 v11, v61, s12, -v63
	;; [unrolled: 7-line block ×3, first 2 shown]
	v_add_f16_e32 v92, v97, v92
	v_mul_f16_e32 v97, 0x3a95, v68
	v_add_f16_e32 v10, v11, v10
	v_fma_f16 v11, v34, s21, v70
	v_fma_f16 v98, v67, s12, v97
	v_add_f16_e32 v11, v18, v11
	v_fma_f16 v12, v36, s23, v72
	v_add_f16_e32 v92, v98, v92
	v_mul_f16_e32 v98, 0x2fb7, v33
	v_add_f16_e32 v11, v12, v11
	v_fma_f16 v12, v38, s14, v73
	v_fma_f16 v99, v34, s23, v98
	v_mul_f16_e32 v100, 0xbbc4, v35
	v_add_f16_e32 v11, v12, v11
	v_fma_f16 v12, v40, s17, v74
	v_add_f16_e32 v99, v18, v99
	v_fma_f16 v101, v36, s17, v100
	;; [unrolled: 2-line block ×3, first 2 shown]
	v_add_f16_e32 v99, v101, v99
	v_mul_f16_e32 v101, 0xb5ac, v37
	v_add_f16_e32 v11, v12, v11
	v_fma_f16 v12, v19, s22, v76
	v_fma_f16 v102, v38, s22, v101
	v_add_f16_e32 v11, v12, v11
	v_fma_f16 v12, v51, s8, -v77
	v_add_f16_e32 v99, v102, v99
	v_mul_f16_e32 v102, 0x3b15, v39
	v_add_f16_e32 v12, v8, v12
	v_fma_f16 v13, v55, s16, -v79
	v_fma_f16 v103, v40, s9, v102
	v_add_f16_e32 v12, v13, v12
	v_fma_f16 v13, v58, s12, -v80
	v_add_f16_e32 v99, v103, v99
	v_mul_f16_e32 v103, 0x388b, v41
	v_add_f16_e32 v12, v13, v12
	v_fma_f16 v13, v61, s6, -v81
	v_fma_f16 v104, v43, s24, v103
	v_add_f16_e32 v12, v13, v12
	v_fma_f16 v13, v64, s7, -v82
	v_add_f16_e32 v99, v104, v99
	v_mul_f16_e32 v104, 0xb9fd, v44
	v_add_f16_e32 v12, v13, v12
	v_fma_f16 v13, v67, s13, -v83
	v_fma_f16 v105, v19, s15, v104
	v_add_f16_e32 v12, v13, v12
	v_fma_f16 v13, v34, s22, v84
	v_add_f16_e32 v99, v105, v99
	v_mul_f16_e32 v105, 0xbbf1, v52
	v_add_f16_e32 v13, v18, v13
	v_fma_f16 v14, v36, s15, v86
	v_fma_f16 v106, v51, s16, v105
	v_mul_f16_e32 v107, 0xb3a8, v56
	v_add_f16_e32 v13, v14, v13
	v_fma_f16 v14, v38, s25, v87
	v_add_f16_e32 v106, v8, v106
	v_fma_f16 v108, v55, s6, v107
	;; [unrolled: 2-line block ×3, first 2 shown]
	v_add_f16_e32 v106, v108, v106
	v_mul_f16_e32 v108, 0x3b7b, v59
	v_add_f16_e32 v13, v14, v13
	v_fma_f16 v14, v43, s17, v89
	v_fma_f16 v109, v58, s13, v108
	v_add_f16_e32 v13, v14, v13
	v_fma_f16 v14, v19, s24, v90
	v_add_f16_e32 v106, v109, v106
	v_mul_f16_e32 v109, 0x3770, v62
	v_add_f16_e32 v13, v14, v13
	v_fma_f16 v14, v51, s13, -v91
	v_fma_f16 v110, v61, s7, v109
	v_add_f16_e32 v14, v8, v14
	v_fma_f16 v15, v55, s8, -v93
	v_add_f16_e32 v106, v110, v106
	v_mul_f16_e32 v110, 0xba95, v65
	v_add_f16_e32 v14, v15, v14
	v_fma_f16 v15, v58, s7, -v94
	v_fma_f16 v111, v64, s12, v110
	v_add_f16_e32 v14, v15, v14
	v_fma_f16 v15, v61, s16, -v95
	v_add_f16_e32 v106, v111, v106
	v_mul_f16_e32 v111, 0xb94e, v68
	v_add_f16_e32 v14, v15, v14
	v_fma_f16 v15, v64, s6, -v96
	v_fma_f16 v112, v67, s8, v111
	v_add_f16_e32 v14, v15, v14
	v_fma_f16 v15, v67, s12, -v97
	v_add_f16_e32 v106, v112, v106
	v_mul_f16_e32 v112, 0x388b, v33
	v_add_f16_e32 v14, v15, v14
	v_fma_f16 v15, v34, s20, v98
	v_fma_f16 v113, v34, s24, v112
	v_mul_f16_e32 v114, 0xb5ac, v35
	v_add_f16_e32 v15, v18, v15
	v_fma_f16 v16, v36, s19, v100
	v_add_f16_e32 v113, v18, v113
	v_fma_f16 v115, v36, s18, v114
	;; [unrolled: 2-line block ×3, first 2 shown]
	v_add_f16_e32 v113, v115, v113
	v_mul_f16_e32 v115, 0xbbc4, v37
	v_add_f16_e32 v15, v16, v15
	v_fma_f16 v16, v40, s25, v102
	v_fma_f16 v116, v38, s17, v115
	v_add_f16_e32 v6, v6, v7
	v_add_f16_e32 v7, v18, v25
	;; [unrolled: 1-line block ×3, first 2 shown]
	v_fma_f16 v16, v43, s14, v103
	v_add_f16_e32 v113, v116, v113
	v_mul_f16_e32 v116, 0xb9fd, v39
	v_add_f16_e32 v7, v7, v27
	v_add_f16_e32 v15, v16, v15
	v_fma_f16 v16, v19, s21, v104
	v_fma_f16 v117, v40, s21, v116
	v_add_f16_e32 v7, v7, v28
	v_add_f16_e32 v15, v16, v15
	v_fma_f16 v16, v51, s16, -v105
	v_add_f16_e32 v113, v117, v113
	v_mul_f16_e32 v117, 0x2fb7, v41
	v_add_f16_e32 v7, v7, v29
	v_add_f16_e32 v16, v8, v16
	v_fma_f16 v17, v55, s6, -v107
	v_fma_f16 v118, v43, s20, v117
	v_add_f16_e32 v7, v7, v31
	v_add_f16_e32 v16, v17, v16
	v_fma_f16 v17, v58, s13, -v108
	v_add_f16_e32 v113, v118, v113
	v_mul_f16_e32 v118, 0x3b15, v44
	v_add_f16_e32 v7, v7, v30
	v_add_f16_e32 v16, v17, v16
	v_fma_f16 v17, v61, s7, -v109
	v_fma_f16 v119, v19, s9, v118
	v_add_f16_e32 v7, v7, v32
	v_add_f16_e32 v16, v17, v16
	v_fma_f16 v17, v64, s12, -v110
	v_add_f16_e32 v113, v119, v113
	v_mul_f16_e32 v119, 0xba95, v52
	v_add_f16_e32 v7, v7, v24
	v_add_f16_e32 v16, v17, v16
	v_fma_f16 v17, v67, s8, -v111
	v_fma_f16 v120, v51, s12, v119
	v_mul_f16_e32 v121, 0xbb7b, v56
	v_add_f16_e32 v7, v7, v26
	v_add_f16_e32 v16, v17, v16
	v_fma_f16 v17, v34, s14, v112
	v_add_f16_e32 v120, v8, v120
	v_fma_f16 v122, v55, s13, v121
	v_add_f16_e32 v7, v7, v20
	v_add_f16_e32 v17, v18, v17
	v_fma_f16 v20, v36, s22, v114
	v_add_f16_e32 v120, v122, v120
	v_mul_f16_e32 v122, 0xb3a8, v59
	v_add_f16_e32 v17, v20, v17
	v_fma_f16 v20, v38, s19, v115
	v_fma_f16 v123, v58, s6, v122
	v_add_f16_e32 v17, v20, v17
	v_fma_f16 v20, v40, s15, v116
	v_add_f16_e32 v120, v123, v120
	v_mul_f16_e32 v123, 0x394e, v62
	v_add_f16_e32 v17, v20, v17
	v_fma_f16 v20, v43, s23, v117
	v_fma_f16 v124, v61, s8, v123
	v_add_f16_e32 v17, v20, v17
	v_fma_f16 v20, v19, s25, v118
	v_add_f16_e32 v120, v124, v120
	v_mul_f16_e32 v124, 0x3bf1, v65
	v_add_f16_e32 v17, v20, v17
	v_fma_f16 v20, v51, s12, -v119
	v_fma_f16 v125, v64, s16, v124
	v_add_f16_e32 v7, v7, v21
	v_add_f16_e32 v20, v8, v20
	v_fma_f16 v21, v55, s13, -v121
	v_add_f16_e32 v120, v125, v120
	v_mul_f16_e32 v125, 0x3770, v68
	v_add_f16_e32 v20, v21, v20
	v_fma_f16 v21, v58, s6, -v122
	v_fma_f16 v126, v67, s7, v125
	v_mul_f16_e32 v33, 0x3b15, v33
	v_add_f16_e32 v20, v21, v20
	v_fma_f16 v21, v61, s8, -v123
	v_add_f16_e32 v120, v126, v120
	v_fma_f16 v126, v34, s25, v33
	v_mul_f16_e32 v35, 0x388b, v35
	v_add_f16_e32 v20, v21, v20
	v_fma_f16 v21, v64, s16, -v124
	v_add_f16_e32 v126, v18, v126
	;; [unrolled: 5-line block ×3, first 2 shown]
	v_fma_f16 v127, v38, s23, v37
	v_mul_f16_e32 v39, 0xb5ac, v39
	v_add_f16_e32 v20, v21, v20
	v_fma_f16 v21, v34, s9, v33
	v_add_f16_e32 v126, v127, v126
	v_fma_f16 v127, v40, s18, v39
	v_mul_f16_e32 v41, 0xb9fd, v41
	v_add_f16_e32 v18, v18, v21
	v_fma_f16 v21, v36, s14, v35
	v_add_f16_e32 v126, v127, v126
	;; [unrolled: 5-line block ×6, first 2 shown]
	v_fma_f16 v128, v58, s16, v59
	v_mul_f16_e32 v62, 0xbb7b, v62
	v_add_f16_e32 v18, v19, v18
	v_fma_f16 v19, v51, s7, -v52
	v_add_f16_e32 v127, v128, v127
	v_fma_f16 v128, v61, s13, v62
	v_mul_f16_e32 v65, 0xb94e, v65
	v_add_f16_e32 v8, v8, v19
	v_fma_f16 v19, v55, s12, -v56
	v_add_f16_e32 v127, v128, v127
	;; [unrolled: 5-line block ×3, first 2 shown]
	v_fma_f16 v128, v67, s6, v68
	v_add_f16_e32 v8, v19, v8
	v_fma_f16 v19, v61, s13, -v62
	v_add_f16_e32 v127, v128, v127
	v_add_f16_e32 v6, v6, v22
	;; [unrolled: 1-line block ×4, first 2 shown]
	v_fma_f16 v19, v64, s8, -v65
	v_add_f16_e32 v8, v19, v8
	v_fma_f16 v19, v67, s6, -v68
	v_pack_b32_f16 v6, v6, v7
	v_pack_b32_f16 v7, v127, v126
	v_add_f16_e32 v8, v19, v8
	ds_write2_b32 v0, v6, v7 offset1:130
	v_pack_b32_f16 v6, v120, v113
	v_pack_b32_f16 v7, v106, v99
	v_add_u32_e32 v19, 0x400, v0
	ds_write2_b32 v19, v6, v7 offset0:4 offset1:134
	v_pack_b32_f16 v6, v92, v85
	v_pack_b32_f16 v7, v78, v71
	v_add_u32_e32 v19, 0x800, v0
	ds_write2_b32 v19, v6, v7 offset0:8 offset1:138
	;; [unrolled: 4-line block ×5, first 2 shown]
	v_pack_b32_f16 v6, v8, v18
	ds_write_b32 v0, v6 offset:6240
.LBB0_25:
	s_or_b64 exec, exec, s[4:5]
	s_waitcnt lgkmcnt(0)
	s_barrier
	s_and_saveexec_b64 s[4:5], s[0:1]
	s_cbranch_execz .LBB0_27
; %bb.26:
	v_mul_lo_u32 v0, s3, v3
	v_mul_lo_u32 v6, s2, v4
	v_mad_u64_u32 v[3:4], s[0:1], s2, v3, 0
	v_lshl_add_u32 v9, v5, 2, 0
	ds_read2_b32 v[7:8], v9 offset1:169
	v_add3_u32 v4, v4, v6, v0
	v_lshlrev_b64 v[3:4], 2, v[3:4]
	v_mov_b32_e32 v0, s11
	v_add_co_u32_e32 v3, vcc, s10, v3
	v_addc_co_u32_e32 v4, vcc, v0, v4, vcc
	v_lshlrev_b64 v[0:1], 2, v[1:2]
	v_mov_b32_e32 v6, 0
	v_add_co_u32_e32 v10, vcc, v3, v0
	v_addc_co_u32_e32 v4, vcc, v4, v1, vcc
	v_lshlrev_b64 v[0:1], 2, v[5:6]
	v_add_u32_e32 v2, 0x400, v9
	v_add_co_u32_e32 v0, vcc, v10, v0
	v_addc_co_u32_e32 v1, vcc, v4, v1, vcc
	s_waitcnt lgkmcnt(0)
	global_store_dword v[0:1], v7, off
	v_add_u32_e32 v0, 0xa9, v5
	v_mov_b32_e32 v1, v6
	v_lshlrev_b64 v[0:1], 2, v[0:1]
	ds_read2_b32 v[2:3], v2 offset0:82 offset1:251
	v_add_co_u32_e32 v0, vcc, v10, v0
	v_addc_co_u32_e32 v1, vcc, v4, v1, vcc
	global_store_dword v[0:1], v8, off
	v_add_u32_e32 v0, 0x152, v5
	v_mov_b32_e32 v1, v6
	v_lshlrev_b64 v[0:1], 2, v[0:1]
	v_add_co_u32_e32 v0, vcc, v10, v0
	v_addc_co_u32_e32 v1, vcc, v4, v1, vcc
	s_waitcnt lgkmcnt(0)
	global_store_dword v[0:1], v2, off
	v_add_u32_e32 v0, 0x1fb, v5
	v_mov_b32_e32 v1, v6
	v_lshlrev_b64 v[0:1], 2, v[0:1]
	v_add_u32_e32 v2, 0xa00, v9
	v_add_co_u32_e32 v0, vcc, v10, v0
	v_addc_co_u32_e32 v1, vcc, v4, v1, vcc
	global_store_dword v[0:1], v3, off
	v_add_u32_e32 v0, 0x2a4, v5
	v_mov_b32_e32 v1, v6
	ds_read2_b32 v[2:3], v2 offset0:36 offset1:205
	v_lshlrev_b64 v[0:1], 2, v[0:1]
	v_add_co_u32_e32 v0, vcc, v10, v0
	v_addc_co_u32_e32 v1, vcc, v4, v1, vcc
	s_waitcnt lgkmcnt(0)
	global_store_dword v[0:1], v2, off
	v_add_u32_e32 v0, 0x34d, v5
	v_mov_b32_e32 v1, v6
	v_lshlrev_b64 v[0:1], 2, v[0:1]
	v_add_u32_e32 v2, 0xf00, v9
	v_add_co_u32_e32 v0, vcc, v10, v0
	v_addc_co_u32_e32 v1, vcc, v4, v1, vcc
	global_store_dword v[0:1], v3, off
	v_add_u32_e32 v0, 0x3f6, v5
	v_mov_b32_e32 v1, v6
	ds_read2_b32 v[2:3], v2 offset0:54 offset1:223
	;; [unrolled: 15-line block ×3, first 2 shown]
	v_lshlrev_b64 v[0:1], 2, v[0:1]
	v_add_u32_e32 v5, 0x5f1, v5
	v_add_co_u32_e32 v0, vcc, v10, v0
	v_addc_co_u32_e32 v1, vcc, v4, v1, vcc
	s_waitcnt lgkmcnt(0)
	global_store_dword v[0:1], v2, off
	v_lshlrev_b64 v[0:1], 2, v[5:6]
	v_add_co_u32_e32 v0, vcc, v10, v0
	v_addc_co_u32_e32 v1, vcc, v4, v1, vcc
	global_store_dword v[0:1], v3, off
.LBB0_27:
	s_endpgm
	.section	.rodata,"a",@progbits
	.p2align	6, 0x0
	.amdhsa_kernel fft_rtc_back_len1690_factors_13_10_13_wgs_169_tpt_169_half_op_CI_CI_unitstride_sbrr_C2R_dirReg
		.amdhsa_group_segment_fixed_size 0
		.amdhsa_private_segment_fixed_size 0
		.amdhsa_kernarg_size 104
		.amdhsa_user_sgpr_count 6
		.amdhsa_user_sgpr_private_segment_buffer 1
		.amdhsa_user_sgpr_dispatch_ptr 0
		.amdhsa_user_sgpr_queue_ptr 0
		.amdhsa_user_sgpr_kernarg_segment_ptr 1
		.amdhsa_user_sgpr_dispatch_id 0
		.amdhsa_user_sgpr_flat_scratch_init 0
		.amdhsa_user_sgpr_private_segment_size 0
		.amdhsa_uses_dynamic_stack 0
		.amdhsa_system_sgpr_private_segment_wavefront_offset 0
		.amdhsa_system_sgpr_workgroup_id_x 1
		.amdhsa_system_sgpr_workgroup_id_y 0
		.amdhsa_system_sgpr_workgroup_id_z 0
		.amdhsa_system_sgpr_workgroup_info 0
		.amdhsa_system_vgpr_workitem_id 0
		.amdhsa_next_free_vgpr 129
		.amdhsa_next_free_sgpr 29
		.amdhsa_reserve_vcc 1
		.amdhsa_reserve_flat_scratch 0
		.amdhsa_float_round_mode_32 0
		.amdhsa_float_round_mode_16_64 0
		.amdhsa_float_denorm_mode_32 3
		.amdhsa_float_denorm_mode_16_64 3
		.amdhsa_dx10_clamp 1
		.amdhsa_ieee_mode 1
		.amdhsa_fp16_overflow 0
		.amdhsa_exception_fp_ieee_invalid_op 0
		.amdhsa_exception_fp_denorm_src 0
		.amdhsa_exception_fp_ieee_div_zero 0
		.amdhsa_exception_fp_ieee_overflow 0
		.amdhsa_exception_fp_ieee_underflow 0
		.amdhsa_exception_fp_ieee_inexact 0
		.amdhsa_exception_int_div_zero 0
	.end_amdhsa_kernel
	.text
.Lfunc_end0:
	.size	fft_rtc_back_len1690_factors_13_10_13_wgs_169_tpt_169_half_op_CI_CI_unitstride_sbrr_C2R_dirReg, .Lfunc_end0-fft_rtc_back_len1690_factors_13_10_13_wgs_169_tpt_169_half_op_CI_CI_unitstride_sbrr_C2R_dirReg
                                        ; -- End function
	.section	.AMDGPU.csdata,"",@progbits
; Kernel info:
; codeLenInByte = 11012
; NumSgprs: 33
; NumVgprs: 129
; ScratchSize: 0
; MemoryBound: 0
; FloatMode: 240
; IeeeMode: 1
; LDSByteSize: 0 bytes/workgroup (compile time only)
; SGPRBlocks: 4
; VGPRBlocks: 32
; NumSGPRsForWavesPerEU: 33
; NumVGPRsForWavesPerEU: 129
; Occupancy: 1
; WaveLimiterHint : 1
; COMPUTE_PGM_RSRC2:SCRATCH_EN: 0
; COMPUTE_PGM_RSRC2:USER_SGPR: 6
; COMPUTE_PGM_RSRC2:TRAP_HANDLER: 0
; COMPUTE_PGM_RSRC2:TGID_X_EN: 1
; COMPUTE_PGM_RSRC2:TGID_Y_EN: 0
; COMPUTE_PGM_RSRC2:TGID_Z_EN: 0
; COMPUTE_PGM_RSRC2:TIDIG_COMP_CNT: 0
	.type	__hip_cuid_2bd1e50bc90fcb4c,@object ; @__hip_cuid_2bd1e50bc90fcb4c
	.section	.bss,"aw",@nobits
	.globl	__hip_cuid_2bd1e50bc90fcb4c
__hip_cuid_2bd1e50bc90fcb4c:
	.byte	0                               ; 0x0
	.size	__hip_cuid_2bd1e50bc90fcb4c, 1

	.ident	"AMD clang version 19.0.0git (https://github.com/RadeonOpenCompute/llvm-project roc-6.4.0 25133 c7fe45cf4b819c5991fe208aaa96edf142730f1d)"
	.section	".note.GNU-stack","",@progbits
	.addrsig
	.addrsig_sym __hip_cuid_2bd1e50bc90fcb4c
	.amdgpu_metadata
---
amdhsa.kernels:
  - .args:
      - .actual_access:  read_only
        .address_space:  global
        .offset:         0
        .size:           8
        .value_kind:     global_buffer
      - .offset:         8
        .size:           8
        .value_kind:     by_value
      - .actual_access:  read_only
        .address_space:  global
        .offset:         16
        .size:           8
        .value_kind:     global_buffer
      - .actual_access:  read_only
        .address_space:  global
        .offset:         24
        .size:           8
        .value_kind:     global_buffer
      - .actual_access:  read_only
        .address_space:  global
        .offset:         32
        .size:           8
        .value_kind:     global_buffer
      - .offset:         40
        .size:           8
        .value_kind:     by_value
      - .actual_access:  read_only
        .address_space:  global
        .offset:         48
        .size:           8
        .value_kind:     global_buffer
      - .actual_access:  read_only
        .address_space:  global
        .offset:         56
        .size:           8
        .value_kind:     global_buffer
      - .offset:         64
        .size:           4
        .value_kind:     by_value
      - .actual_access:  read_only
        .address_space:  global
        .offset:         72
        .size:           8
        .value_kind:     global_buffer
      - .actual_access:  read_only
        .address_space:  global
        .offset:         80
        .size:           8
        .value_kind:     global_buffer
      - .actual_access:  read_only
        .address_space:  global
        .offset:         88
        .size:           8
        .value_kind:     global_buffer
      - .actual_access:  write_only
        .address_space:  global
        .offset:         96
        .size:           8
        .value_kind:     global_buffer
    .group_segment_fixed_size: 0
    .kernarg_segment_align: 8
    .kernarg_segment_size: 104
    .language:       OpenCL C
    .language_version:
      - 2
      - 0
    .max_flat_workgroup_size: 169
    .name:           fft_rtc_back_len1690_factors_13_10_13_wgs_169_tpt_169_half_op_CI_CI_unitstride_sbrr_C2R_dirReg
    .private_segment_fixed_size: 0
    .sgpr_count:     33
    .sgpr_spill_count: 0
    .symbol:         fft_rtc_back_len1690_factors_13_10_13_wgs_169_tpt_169_half_op_CI_CI_unitstride_sbrr_C2R_dirReg.kd
    .uniform_work_group_size: 1
    .uses_dynamic_stack: false
    .vgpr_count:     129
    .vgpr_spill_count: 0
    .wavefront_size: 64
amdhsa.target:   amdgcn-amd-amdhsa--gfx906
amdhsa.version:
  - 1
  - 2
...

	.end_amdgpu_metadata
